;; amdgpu-corpus repo=ROCm/rocFFT kind=compiled arch=gfx1030 opt=O3
	.text
	.amdgcn_target "amdgcn-amd-amdhsa--gfx1030"
	.amdhsa_code_object_version 6
	.protected	bluestein_single_fwd_len110_dim1_dp_op_CI_CI ; -- Begin function bluestein_single_fwd_len110_dim1_dp_op_CI_CI
	.globl	bluestein_single_fwd_len110_dim1_dp_op_CI_CI
	.p2align	8
	.type	bluestein_single_fwd_len110_dim1_dp_op_CI_CI,@function
bluestein_single_fwd_len110_dim1_dp_op_CI_CI: ; @bluestein_single_fwd_len110_dim1_dp_op_CI_CI
; %bb.0:
	s_load_dwordx4 s[8:11], s[4:5], 0x28
	v_mul_u32_u24_e32 v1, 0x1746, v0
	s_mov_b64 s[42:43], s[2:3]
	s_mov_b64 s[40:41], s[0:1]
	s_mov_b32 s0, exec_lo
	s_add_u32 s40, s40, s7
	v_lshrrev_b32_e32 v1, 16, v1
	s_addc_u32 s41, s41, 0
	v_mad_u64_u32 v[156:157], null, s6, 18, v[1:2]
	v_mov_b32_e32 v157, 0
	s_waitcnt lgkmcnt(0)
	v_cmpx_gt_u64_e64 s[8:9], v[156:157]
	s_cbranch_execz .LBB0_10
; %bb.1:
	s_clause 0x1
	s_load_dwordx4 s[0:3], s[4:5], 0x18
	s_load_dwordx4 s[12:15], s[4:5], 0x0
	v_mul_lo_u16 v1, v1, 11
	v_mul_hi_u32 v81, 0x38e38e39, v156
	s_mov_b32 s21, 0xbfee6f0e
	v_sub_nc_u16 v72, v0, v1
	v_lshrrev_b32_e32 v81, 2, v81
	v_and_b32_e32 v223, 0xffff, v72
	v_mul_lo_u32 v81, v81, 18
	v_lshlrev_b32_e32 v226, 4, v223
	v_add_nc_u32_e32 v139, 11, v223
	v_lshrrev_b32_e32 v179, 1, v223
	s_waitcnt lgkmcnt(0)
	s_load_dwordx4 s[16:19], s[0:1], 0x0
	v_lshrrev_b32_e32 v180, 1, v139
	v_sub_nc_u32_e32 v121, v156, v81
	v_mul_u32_u24_e32 v121, 0x6e, v121
	v_lshlrev_b32_e32 v227, 4, v121
	v_add_nc_u32_e32 v224, v226, v227
	s_waitcnt lgkmcnt(0)
	v_mad_u64_u32 v[20:21], null, s18, v156, 0
	v_mad_u64_u32 v[22:23], null, s16, v223, 0
	s_mul_i32 s0, s17, 0x370
	s_mul_hi_u32 s1, s16, 0x370
	s_mul_i32 s6, s16, 0x370
	s_add_i32 s1, s1, s0
	v_mov_b32_e32 v0, v21
	s_mul_hi_u32 s8, s16, 0xfffffd40
	v_mov_b32_e32 v4, v23
	s_mul_i32 s7, s17, 0xfffffd40
	s_mul_i32 s9, s16, 0xfffffd40
	v_mad_u64_u32 v[23:24], null, s19, v156, v[0:1]
	v_mad_u64_u32 v[24:25], null, s17, v223, v[4:5]
	s_sub_i32 s0, s8, s16
	global_load_dwordx4 v[0:3], v226, s[12:13] offset:880
	s_add_i32 s0, s0, s7
	s_clause 0x3
	global_load_dwordx4 v[4:7], v226, s[12:13]
	global_load_dwordx4 v[8:11], v226, s[12:13] offset:176
	global_load_dwordx4 v[12:15], v226, s[12:13] offset:1056
	;; [unrolled: 1-line block ×3, first 2 shown]
	v_mov_b32_e32 v21, v23
	v_lshl_add_u32 v228, v139, 5, v227
	v_mov_b32_e32 v23, v24
	v_lshl_add_u32 v233, v223, 5, v227
	s_mov_b32 s18, 0x134454ff
	v_lshlrev_b64 v[20:21], 4, v[20:21]
	s_mov_b32 s19, 0x3fee6f0e
	v_lshlrev_b64 v[22:23], 4, v[22:23]
	s_mov_b32 s20, s18
	s_mov_b32 s7, 0xbfe2cf23
	s_mov_b32 s16, 0x372fe950
	v_add_co_u32 v20, vcc_lo, s10, v20
	v_add_co_ci_u32_e32 v21, vcc_lo, s11, v21, vcc_lo
	s_mov_b32 s17, 0x3fd3c6ef
	v_add_co_u32 v32, vcc_lo, v20, v22
	v_add_co_ci_u32_e32 v33, vcc_lo, v21, v23, vcc_lo
	s_clause 0x1
	global_load_dwordx4 v[20:23], v226, s[12:13] offset:352
	global_load_dwordx4 v[24:27], v226, s[12:13] offset:528
	v_add_co_u32 v34, vcc_lo, v32, s6
	v_add_co_ci_u32_e32 v35, vcc_lo, s1, v33, vcc_lo
	global_load_dwordx4 v[40:43], v[32:33], off
	v_add_co_u32 v36, vcc_lo, v34, s9
	v_add_co_ci_u32_e32 v37, vcc_lo, s0, v35, vcc_lo
	global_load_dwordx4 v[28:31], v226, s[12:13] offset:1408
	v_add_co_u32 v38, vcc_lo, v36, s6
	v_add_co_ci_u32_e32 v39, vcc_lo, s1, v37, vcc_lo
	s_clause 0x1
	global_load_dwordx4 v[44:47], v[34:35], off
	global_load_dwordx4 v[48:51], v[36:37], off
	v_add_co_u32 v56, vcc_lo, v38, s9
	v_add_co_ci_u32_e32 v57, vcc_lo, s0, v39, vcc_lo
	v_add_co_u32 v32, vcc_lo, v56, s6
	v_add_co_ci_u32_e32 v33, vcc_lo, s1, v57, vcc_lo
	s_clause 0x1
	global_load_dwordx4 v[52:55], v[38:39], off
	global_load_dwordx4 v[56:59], v[56:57], off
	v_add_co_u32 v34, vcc_lo, v32, s9
	v_add_co_ci_u32_e32 v35, vcc_lo, s0, v33, vcc_lo
	global_load_dwordx4 v[60:63], v[32:33], off
	v_add_co_u32 v36, vcc_lo, v34, s6
	v_add_co_ci_u32_e32 v37, vcc_lo, s1, v35, vcc_lo
	;; [unrolled: 3-line block ×3, first 2 shown]
	v_add_co_u32 v77, vcc_lo, v38, s6
	v_add_co_ci_u32_e32 v78, vcc_lo, s1, v39, vcc_lo
	global_load_dwordx4 v[68:71], v[36:37], off
	global_load_dwordx4 v[32:35], v226, s[12:13] offset:704
	global_load_dwordx4 v[73:76], v[38:39], off
	global_load_dwordx4 v[36:39], v226, s[12:13] offset:1584
	global_load_dwordx4 v[77:80], v[77:78], off
	s_load_dwordx4 s[8:11], s[2:3], 0x0
	s_mov_b32 s0, 0x4755a5e
	s_mov_b32 s1, 0x3fe2cf23
	;; [unrolled: 1-line block ×3, first 2 shown]
	s_load_dwordx2 s[2:3], s[4:5], 0x38
	v_cmp_gt_u16_e32 vcc_lo, 10, v72
	s_waitcnt vmcnt(12)
	v_mul_f64 v[81:82], v[42:43], v[6:7]
	v_mul_f64 v[83:84], v[40:41], v[6:7]
	s_waitcnt vmcnt(10)
	v_mul_f64 v[85:86], v[46:47], v[2:3]
	v_mul_f64 v[87:88], v[44:45], v[2:3]
	;; [unrolled: 3-line block ×5, first 2 shown]
	v_fma_f64 v[40:41], v[40:41], v[4:5], v[81:82]
	v_fma_f64 v[42:43], v[42:43], v[4:5], -v[83:84]
	s_waitcnt vmcnt(6)
	v_mul_f64 v[101:102], v[62:63], v[18:19]
	v_mul_f64 v[103:104], v[60:61], v[18:19]
	s_waitcnt vmcnt(5)
	v_mul_f64 v[105:106], v[66:67], v[26:27]
	v_mul_f64 v[107:108], v[64:65], v[26:27]
	v_fma_f64 v[44:45], v[44:45], v[0:1], v[85:86]
	v_fma_f64 v[46:47], v[46:47], v[0:1], -v[87:88]
	v_fma_f64 v[48:49], v[48:49], v[8:9], v[89:90]
	v_fma_f64 v[50:51], v[50:51], v[8:9], -v[91:92]
	s_waitcnt vmcnt(4)
	v_mul_f64 v[109:110], v[70:71], v[30:31]
	v_mul_f64 v[111:112], v[68:69], v[30:31]
	s_waitcnt vmcnt(2)
	v_mul_f64 v[113:114], v[75:76], v[34:35]
	v_mul_f64 v[115:116], v[73:74], v[34:35]
	;; [unrolled: 3-line block ×3, first 2 shown]
	v_fma_f64 v[52:53], v[52:53], v[12:13], v[93:94]
	v_fma_f64 v[54:55], v[54:55], v[12:13], -v[95:96]
	v_fma_f64 v[56:57], v[56:57], v[20:21], v[97:98]
	v_fma_f64 v[58:59], v[58:59], v[20:21], -v[99:100]
	v_lshlrev_b16 v85, 1, v72
	v_fma_f64 v[60:61], v[60:61], v[16:17], v[101:102]
	v_fma_f64 v[62:63], v[62:63], v[16:17], -v[103:104]
	v_fma_f64 v[64:65], v[64:65], v[24:25], v[105:106]
	v_fma_f64 v[66:67], v[66:67], v[24:25], -v[107:108]
	v_fma_f64 v[68:69], v[68:69], v[28:29], v[109:110]
	v_fma_f64 v[70:71], v[70:71], v[28:29], -v[111:112]
	v_fma_f64 v[73:74], v[73:74], v[32:33], v[113:114]
	v_fma_f64 v[75:76], v[75:76], v[32:33], -v[115:116]
	v_fma_f64 v[77:78], v[77:78], v[36:37], v[117:118]
	v_fma_f64 v[79:80], v[79:80], v[36:37], -v[119:120]
	ds_write_b128 v224, v[40:43]
	ds_write_b128 v224, v[44:47] offset:880
	ds_write_b128 v224, v[48:51] offset:176
	;; [unrolled: 1-line block ×9, first 2 shown]
	s_waitcnt lgkmcnt(0)
	s_barrier
	buffer_gl0_inv
	ds_read_b128 v[40:43], v224 offset:880
	ds_read_b128 v[44:47], v224
	ds_read_b128 v[48:51], v224 offset:176
	ds_read_b128 v[52:55], v224 offset:1056
	;; [unrolled: 1-line block ×8, first 2 shown]
	s_waitcnt lgkmcnt(0)
	s_barrier
	buffer_gl0_inv
	v_add_f64 v[40:41], v[44:45], -v[40:41]
	v_add_f64 v[42:43], v[46:47], -v[42:43]
	;; [unrolled: 1-line block ×10, first 2 shown]
	v_fma_f64 v[44:45], v[44:45], 2.0, -v[40:41]
	v_fma_f64 v[46:47], v[46:47], 2.0, -v[42:43]
	;; [unrolled: 1-line block ×10, first 2 shown]
	v_and_b32_e32 v74, 0xffff, v85
	v_and_b32_e32 v73, 1, v223
	v_lshl_add_u32 v225, v74, 4, v227
	v_and_b32_e32 v74, 1, v139
	v_lshlrev_b32_e32 v75, 6, v73
	ds_write_b128 v225, v[40:43] offset:16
	ds_write_b128 v228, v[52:55] offset:16
	;; [unrolled: 1-line block ×5, first 2 shown]
	ds_write_b128 v225, v[44:47]
	ds_write_b128 v228, v[48:51]
	ds_write_b128 v233, v[60:63] offset:704
	ds_write_b128 v233, v[64:67] offset:1056
	;; [unrolled: 1-line block ×3, first 2 shown]
	v_lshlrev_b32_e32 v52, 6, v74
	s_waitcnt lgkmcnt(0)
	s_barrier
	buffer_gl0_inv
	s_clause 0x7
	global_load_dwordx4 v[44:47], v75, s[14:15] offset:16
	global_load_dwordx4 v[40:43], v75, s[14:15] offset:32
	global_load_dwordx4 v[48:51], v75, s[14:15]
	global_load_dwordx4 v[68:71], v75, s[14:15] offset:48
	global_load_dwordx4 v[64:67], v52, s[14:15]
	global_load_dwordx4 v[60:63], v52, s[14:15] offset:16
	global_load_dwordx4 v[56:59], v52, s[14:15] offset:32
	;; [unrolled: 1-line block ×3, first 2 shown]
	ds_read_b128 v[75:78], v224 offset:704
	ds_read_b128 v[79:82], v224 offset:1056
	;; [unrolled: 1-line block ×8, first 2 shown]
	s_waitcnt vmcnt(7) lgkmcnt(7)
	v_mul_f64 v[107:108], v[77:78], v[46:47]
	s_waitcnt vmcnt(6) lgkmcnt(6)
	v_mul_f64 v[109:110], v[81:82], v[42:43]
	;; [unrolled: 2-line block ×3, first 2 shown]
	v_mul_f64 v[113:114], v[83:84], v[50:51]
	s_waitcnt vmcnt(4) lgkmcnt(4)
	v_mul_f64 v[115:116], v[87:88], v[70:71]
	v_mul_f64 v[117:118], v[75:76], v[46:47]
	;; [unrolled: 1-line block ×4, first 2 shown]
	s_waitcnt vmcnt(3) lgkmcnt(3)
	v_mul_f64 v[123:124], v[93:94], v[66:67]
	v_mul_f64 v[125:126], v[91:92], v[66:67]
	s_waitcnt vmcnt(2) lgkmcnt(2)
	v_mul_f64 v[127:128], v[97:98], v[62:63]
	v_mul_f64 v[129:130], v[95:96], v[62:63]
	s_waitcnt vmcnt(1) lgkmcnt(1)
	v_mul_f64 v[131:132], v[101:102], v[58:59]
	v_mul_f64 v[133:134], v[99:100], v[58:59]
	s_waitcnt vmcnt(0) lgkmcnt(0)
	v_mul_f64 v[135:136], v[105:106], v[54:55]
	v_mul_f64 v[137:138], v[103:104], v[54:55]
	v_fma_f64 v[107:108], v[75:76], v[44:45], -v[107:108]
	v_fma_f64 v[109:110], v[79:80], v[40:41], -v[109:110]
	;; [unrolled: 1-line block ×3, first 2 shown]
	v_fma_f64 v[85:86], v[85:86], v[48:49], v[113:114]
	v_fma_f64 v[89:90], v[89:90], v[68:69], v[115:116]
	;; [unrolled: 1-line block ×3, first 2 shown]
	v_fma_f64 v[87:88], v[87:88], v[68:69], -v[119:120]
	v_fma_f64 v[113:114], v[81:82], v[40:41], v[121:122]
	v_fma_f64 v[91:92], v[91:92], v[64:65], -v[123:124]
	v_fma_f64 v[93:94], v[93:94], v[64:65], v[125:126]
	;; [unrolled: 2-line block ×5, first 2 shown]
	ds_read_b128 v[75:78], v224
	ds_read_b128 v[79:82], v224 offset:176
	s_waitcnt lgkmcnt(0)
	s_barrier
	buffer_gl0_inv
	v_add_f64 v[115:116], v[107:108], v[109:110]
	v_add_f64 v[119:120], v[83:84], -v[107:108]
	v_add_f64 v[133:134], v[107:108], -v[109:110]
	v_add_f64 v[137:138], v[85:86], v[89:90]
	v_add_f64 v[123:124], v[85:86], -v[111:112]
	v_add_f64 v[121:122], v[87:88], -v[109:110]
	;; [unrolled: 1-line block ×3, first 2 shown]
	v_add_f64 v[129:130], v[111:112], v[113:114]
	v_add_f64 v[135:136], v[83:84], v[87:88]
	v_add_f64 v[117:118], v[85:86], -v[89:90]
	v_add_f64 v[127:128], v[111:112], -v[113:114]
	v_add_f64 v[143:144], v[95:96], v[99:100]
	v_add_f64 v[147:148], v[97:98], v[101:102]
	;; [unrolled: 1-line block ×4, first 2 shown]
	v_add_f64 v[131:132], v[83:84], -v[87:88]
	v_add_f64 v[139:140], v[75:76], v[83:84]
	v_add_f64 v[141:142], v[77:78], v[85:86]
	v_add_f64 v[83:84], v[107:108], -v[83:84]
	v_add_f64 v[85:86], v[111:112], -v[85:86]
	v_add_f64 v[151:152], v[79:80], v[91:92]
	v_add_f64 v[153:154], v[81:82], v[93:94]
	v_add_f64 v[157:158], v[109:110], -v[87:88]
	v_add_f64 v[159:160], v[113:114], -v[89:90]
	;; [unrolled: 1-line block ×6, first 2 shown]
	v_fma_f64 v[115:116], v[115:116], -0.5, v[75:76]
	v_fma_f64 v[129:130], v[129:130], -0.5, v[77:78]
	;; [unrolled: 1-line block ×3, first 2 shown]
	v_add_f64 v[91:92], v[91:92], -v[103:104]
	v_fma_f64 v[77:78], v[137:138], -0.5, v[77:78]
	v_add_f64 v[135:136], v[95:96], -v[99:100]
	v_fma_f64 v[137:138], v[143:144], -0.5, v[79:80]
	v_add_f64 v[120:121], v[119:120], v[121:122]
	v_fma_f64 v[79:80], v[145:146], -0.5, v[79:80]
	v_add_f64 v[122:123], v[123:124], v[125:126]
	v_fma_f64 v[124:125], v[147:148], -0.5, v[81:82]
	v_fma_f64 v[81:82], v[149:150], -0.5, v[81:82]
	v_add_f64 v[163:164], v[93:94], -v[97:98]
	v_add_f64 v[93:94], v[97:98], -v[93:94]
	;; [unrolled: 1-line block ×6, first 2 shown]
	v_add_f64 v[107:108], v[139:140], v[107:108]
	v_add_f64 v[111:112], v[141:142], v[111:112]
	;; [unrolled: 1-line block ×6, first 2 shown]
	v_fma_f64 v[144:145], v[117:118], s[18:19], v[115:116]
	v_fma_f64 v[146:147], v[131:132], s[20:21], v[129:130]
	;; [unrolled: 1-line block ×16, first 2 shown]
	v_add_f64 v[140:141], v[167:168], v[171:172]
	v_add_f64 v[142:143], v[169:170], v[173:174]
	;; [unrolled: 1-line block ×8, first 2 shown]
	v_fma_f64 v[99:100], v[127:128], s[0:1], v[144:145]
	v_fma_f64 v[101:102], v[133:134], s[6:7], v[146:147]
	;; [unrolled: 1-line block ×16, first 2 shown]
	v_mul_u32_u24_e32 v111, 10, v179
	v_mul_u32_u24_e32 v159, 10, v180
	v_add_f64 v[116:117], v[107:108], v[87:88]
	v_add_f64 v[118:119], v[109:110], v[89:90]
	;; [unrolled: 1-line block ×4, first 2 shown]
	v_fma_f64 v[128:129], v[120:121], s[16:17], v[99:100]
	v_fma_f64 v[130:131], v[122:123], s[16:17], v[101:102]
	;; [unrolled: 1-line block ×16, first 2 shown]
	v_or_b32_e32 v72, v111, v73
	v_or_b32_e32 v73, v159, v74
	v_add_co_u32 v74, s0, s12, v226
	v_add_co_ci_u32_e64 v75, null, s13, 0, s0
	v_lshl_add_u32 v230, v72, 4, v227
	v_lshl_add_u32 v229, v73, 4, v227
	ds_write_b128 v230, v[116:119]
	ds_write_b128 v230, v[128:131] offset:32
	ds_write_b128 v230, v[136:139] offset:64
	;; [unrolled: 1-line block ×4, first 2 shown]
	ds_write_b128 v229, v[112:115]
	ds_write_b128 v229, v[120:123] offset:32
	ds_write_b128 v229, v[140:143] offset:64
	;; [unrolled: 1-line block ×4, first 2 shown]
	s_waitcnt lgkmcnt(0)
	s_barrier
	buffer_gl0_inv
                                        ; implicit-def: $vgpr152_vgpr153
	s_and_saveexec_b32 s0, vcc_lo
	s_cbranch_execz .LBB0_3
; %bb.2:
	ds_read_b128 v[116:119], v224
	ds_read_b128 v[128:131], v224 offset:160
	ds_read_b128 v[136:139], v224 offset:320
	ds_read_b128 v[132:135], v224 offset:480
	ds_read_b128 v[124:127], v224 offset:640
	ds_read_b128 v[112:115], v224 offset:800
	ds_read_b128 v[120:123], v224 offset:960
	ds_read_b128 v[140:143], v224 offset:1120
	ds_read_b128 v[144:147], v224 offset:1280
	ds_read_b128 v[148:151], v224 offset:1440
	ds_read_b128 v[152:155], v224 offset:1600
.LBB0_3:
	s_or_b32 exec_lo, exec_lo, s0
	v_add_nc_u32_e32 v72, -10, v223
	s_mov_b32 s4, 0x8764f0ba
	s_mov_b32 s6, 0x8eee2c13
	;; [unrolled: 1-line block ×4, first 2 shown]
	v_cndmask_b32_e32 v72, v72, v223, vcc_lo
	s_mov_b32 s16, 0x43842ef
	s_mov_b32 s17, 0xbfefac9e
	;; [unrolled: 1-line block ×4, first 2 shown]
	v_mul_i32_i24_e32 v73, 0xa0, v72
	v_mul_hi_i32_i24_e32 v72, 0xa0, v72
	s_mov_b32 s21, 0xbfc2375f
	s_mov_b32 s19, 0xbfe82f19
	;; [unrolled: 1-line block ×3, first 2 shown]
	v_add_co_u32 v92, s0, s14, v73
	v_add_co_ci_u32_e64 v93, s0, s15, v72, s0
	s_mov_b32 s0, 0xf8bb580b
	s_mov_b32 s1, 0xbfe14ced
	;; [unrolled: 1-line block ×3, first 2 shown]
	s_clause 0x9
	global_load_dwordx4 v[240:243], v[92:93], off offset:128
	global_load_dwordx4 v[108:111], v[92:93], off offset:272
	;; [unrolled: 1-line block ×10, first 2 shown]
	s_mov_b32 s15, 0x3fda9628
	s_mov_b32 s24, 0xfd768dbf
	;; [unrolled: 1-line block ×6, first 2 shown]
	s_waitcnt vmcnt(9) lgkmcnt(9)
	v_mul_f64 v[159:160], v[128:129], v[242:243]
	s_waitcnt vmcnt(8) lgkmcnt(0)
	v_mul_f64 v[161:162], v[152:153], v[110:111]
	v_mul_f64 v[163:164], v[130:131], v[242:243]
	;; [unrolled: 1-line block ×3, first 2 shown]
	s_waitcnt vmcnt(7)
	v_mul_f64 v[167:168], v[138:139], v[102:103]
	v_mul_f64 v[169:170], v[136:137], v[102:103]
	s_waitcnt vmcnt(6)
	v_mul_f64 v[171:172], v[150:151], v[106:107]
	v_mul_f64 v[173:174], v[148:149], v[106:107]
	;; [unrolled: 3-line block ×4, first 2 shown]
	v_fma_f64 v[203:204], v[130:131], v[240:241], v[159:160]
	v_fma_f64 v[130:131], v[154:155], v[108:109], v[161:162]
	v_fma_f64 v[205:206], v[128:129], v[240:241], -v[163:164]
	v_fma_f64 v[207:208], v[152:153], v[108:109], -v[165:166]
	v_mul_f64 v[159:160], v[134:135], v[246:247]
	v_mul_f64 v[161:162], v[132:133], v[246:247]
	;; [unrolled: 1-line block ×4, first 2 shown]
	v_fma_f64 v[72:73], v[136:137], v[100:101], -v[167:168]
	v_fma_f64 v[76:77], v[138:139], v[100:101], v[169:170]
	v_fma_f64 v[136:137], v[150:151], v[104:105], v[173:174]
	v_fma_f64 v[138:139], v[148:149], v[104:105], -v[171:172]
	v_mul_f64 v[167:168], v[126:127], v[90:91]
	v_mul_f64 v[169:170], v[124:125], v[90:91]
	v_fma_f64 v[181:182], v[120:121], v[92:93], -v[179:180]
	v_fma_f64 v[185:186], v[122:123], v[92:93], v[183:184]
	v_add_f64 v[211:212], v[203:204], -v[130:131]
	v_add_f64 v[217:218], v[203:204], v[130:131]
	v_add_f64 v[215:216], v[205:206], -v[207:208]
	v_fma_f64 v[148:149], v[132:133], v[244:245], -v[159:160]
	v_fma_f64 v[150:151], v[134:135], v[244:245], v[161:162]
	v_fma_f64 v[134:135], v[144:145], v[80:81], -v[163:164]
	v_fma_f64 v[144:145], v[146:147], v[80:81], v[165:166]
	v_add_f64 v[213:214], v[205:206], v[207:208]
	v_mul_f64 v[159:160], v[114:115], v[98:99]
	v_add_f64 v[146:147], v[76:77], -v[136:137]
	v_add_f64 v[132:133], v[72:73], -v[138:139]
	v_mul_f64 v[163:164], v[112:113], v[98:99]
	v_fma_f64 v[171:172], v[124:125], v[88:89], -v[167:168]
	v_fma_f64 v[173:174], v[126:127], v[88:89], v[169:170]
	v_fma_f64 v[167:168], v[140:141], v[84:85], -v[175:176]
	v_fma_f64 v[169:170], v[142:143], v[84:85], v[177:178]
	v_add_f64 v[124:125], v[72:73], v[138:139]
	v_add_f64 v[161:162], v[76:77], v[136:137]
	v_mul_f64 v[219:220], v[211:212], s[0:1]
	v_mul_f64 v[221:222], v[215:216], s[0:1]
	v_add_f64 v[126:127], v[148:149], -v[134:135]
	v_add_f64 v[165:166], v[150:151], -v[144:145]
	v_add_f64 v[120:121], v[148:149], v[134:135]
	v_fma_f64 v[187:188], v[112:113], v[96:97], -v[159:160]
	v_mul_f64 v[191:192], v[146:147], s[6:7]
	v_mul_f64 v[193:194], v[132:133], s[6:7]
	v_fma_f64 v[189:190], v[114:115], v[96:97], v[163:164]
	v_add_f64 v[128:129], v[150:151], v[144:145]
	v_add_f64 v[122:123], v[171:172], -v[167:168]
	v_add_f64 v[179:180], v[173:174], -v[169:170]
	v_add_f64 v[183:184], v[173:174], v[169:170]
	v_fma_f64 v[140:141], v[213:214], s[4:5], v[219:220]
	v_fma_f64 v[142:143], v[217:218], s[4:5], -v[221:222]
	v_mul_f64 v[197:198], v[126:127], s[16:17]
	v_mul_f64 v[195:196], v[165:166], s[16:17]
	v_add_f64 v[159:160], v[187:188], -v[181:182]
	v_fma_f64 v[112:113], v[124:125], s[14:15], v[191:192]
	v_fma_f64 v[114:115], v[161:162], s[14:15], -v[193:194]
	v_mul_f64 v[201:202], v[122:123], s[18:19]
	v_mul_f64 v[199:200], v[179:180], s[18:19]
	v_add_f64 v[163:164], v[116:117], v[140:141]
	v_add_f64 v[140:141], v[171:172], v[167:168]
	;; [unrolled: 1-line block ×3, first 2 shown]
	v_add_f64 v[142:143], v[189:190], -v[185:186]
	v_fma_f64 v[234:235], v[128:129], s[20:21], -v[197:198]
	v_fma_f64 v[231:232], v[120:121], s[20:21], v[195:196]
	v_mul_f64 v[78:79], v[159:160], s[24:25]
	v_fma_f64 v[238:239], v[183:184], s[22:23], -v[201:202]
	v_add_f64 v[112:113], v[112:113], v[163:164]
	v_add_f64 v[163:164], v[187:188], v[181:182]
	;; [unrolled: 1-line block ×4, first 2 shown]
	v_mul_f64 v[175:176], v[142:143], s[24:25]
	v_fma_f64 v[236:237], v[140:141], s[22:23], v[199:200]
	v_add_f64 v[112:113], v[231:232], v[112:113]
	v_add_f64 v[114:115], v[234:235], v[114:115]
	v_fma_f64 v[234:235], v[177:178], s[26:27], -v[78:79]
	v_fma_f64 v[231:232], v[163:164], s[26:27], v[175:176]
	v_add_f64 v[112:113], v[236:237], v[112:113]
	v_add_f64 v[114:115], v[238:239], v[114:115]
	;; [unrolled: 1-line block ×3, first 2 shown]
	v_add_nc_u32_e32 v231, 0x2c0, v233
	v_add_f64 v[114:115], v[234:235], v[114:115]
	v_add_nc_u32_e32 v232, 0x420, v233
	v_add_nc_u32_e32 v233, 0x580, v233
	s_and_saveexec_b32 s33, vcc_lo
	s_cbranch_execz .LBB0_5
; %bb.4:
	v_mul_f64 v[234:235], v[217:218], s[4:5]
	v_mul_f64 v[236:237], v[217:218], s[22:23]
	;; [unrolled: 1-line block ×3, first 2 shown]
	buffer_store_dword v72, off, s[40:43], 0 offset:68 ; 4-byte Folded Spill
	buffer_store_dword v73, off, s[40:43], 0 offset:72 ; 4-byte Folded Spill
	;; [unrolled: 1-line block ×6, first 2 shown]
	v_mov_b32_e32 v145, v79
	s_mov_b32 s35, 0x3fd207e7
	s_mov_b32 s34, s24
	;; [unrolled: 1-line block ×8, first 2 shown]
	v_mov_b32_e32 v144, v78
	v_mov_b32_e32 v78, v75
	v_mov_b32_e32 v77, v74
	v_mov_b32_e32 v73, v240
	v_mov_b32_e32 v152, v244
	v_mov_b32_e32 v74, v241
	v_mov_b32_e32 v75, v242
	v_mov_b32_e32 v76, v243
	v_add_f64 v[221:222], v[221:222], v[234:235]
	v_mul_f64 v[234:235], v[213:214], s[4:5]
	v_fma_f64 v[242:243], v[215:216], s[28:29], v[236:237]
	v_fma_f64 v[236:237], v[215:216], s[18:19], v[236:237]
	v_mov_b32_e32 v153, v245
	v_mov_b32_e32 v154, v246
	;; [unrolled: 1-line block ×3, first 2 shown]
	v_fma_f64 v[244:245], v[215:216], s[38:39], v[238:239]
	v_fma_f64 v[238:239], v[215:216], s[16:17], v[238:239]
	v_mul_f64 v[248:249], v[211:212], s[18:19]
	v_mul_f64 v[250:251], v[211:212], s[16:17]
	buffer_store_dword v136, off, s[40:43], 0 offset:52 ; 4-byte Folded Spill
	buffer_store_dword v137, off, s[40:43], 0 offset:56 ; 4-byte Folded Spill
	buffer_store_dword v233, off, s[40:43], 0 ; 4-byte Folded Spill
	buffer_store_dword v207, off, s[40:43], 0 offset:4 ; 4-byte Folded Spill
	buffer_store_dword v208, off, s[40:43], 0 offset:8 ; 4-byte Folded Spill
	;; [unrolled: 1-line block ×4, first 2 shown]
	v_mov_b32_e32 v233, v225
	v_mov_b32_e32 v225, v227
	v_mov_b32_e32 v136, v223
	v_mov_b32_e32 v223, v228
	v_mov_b32_e32 v134, v231
	v_mov_b32_e32 v207, v232
	buffer_store_dword v130, off, s[40:43], 0 offset:12 ; 4-byte Folded Spill
	buffer_store_dword v131, off, s[40:43], 0 offset:16 ; 4-byte Folded Spill
	v_mov_b32_e32 v72, v156
	v_add_f64 v[130:131], v[116:117], v[205:206]
	v_add_f64 v[219:220], v[234:235], -v[219:220]
	v_mul_f64 v[234:235], v[217:218], s[26:27]
	v_mul_f64 v[217:218], v[217:218], s[14:15]
	v_add_f64 v[236:237], v[118:119], v[236:237]
	v_add_f64 v[221:222], v[118:119], v[221:222]
	s_mov_b32 s37, 0x3fe14ced
	v_add_f64 v[156:157], v[118:119], v[244:245]
	v_add_f64 v[238:239], v[118:119], v[238:239]
	v_fma_f64 v[254:255], v[213:214], s[22:23], v[248:249]
	v_fma_f64 v[248:249], v[213:214], s[22:23], -v[248:249]
	v_fma_f64 v[227:228], v[213:214], s[20:21], -v[250:251]
	v_fma_f64 v[250:251], v[213:214], s[20:21], v[250:251]
	s_mov_b32 s36, s0
	v_mov_b32_e32 v209, v200
	v_mov_b32_e32 v208, v199
	;; [unrolled: 1-line block ×6, first 2 shown]
	v_mul_f64 v[191:192], v[177:178], s[20:21]
	buffer_store_dword v156, off, s[40:43], 0 offset:28 ; 4-byte Folded Spill
	buffer_store_dword v157, off, s[40:43], 0 offset:32 ; 4-byte Folded Spill
	v_fma_f64 v[240:241], v[215:216], s[34:35], v[234:235]
	v_fma_f64 v[234:235], v[215:216], s[24:25], v[234:235]
	;; [unrolled: 1-line block ×4, first 2 shown]
	v_mul_f64 v[217:218], v[211:212], s[24:25]
	v_mul_f64 v[211:212], v[211:212], s[6:7]
	v_add_f64 v[248:249], v[116:117], v[248:249]
	v_add_f64 v[219:220], v[116:117], v[219:220]
	;; [unrolled: 1-line block ×4, first 2 shown]
	v_mov_b32_e32 v158, v139
	v_mov_b32_e32 v157, v138
	;; [unrolled: 1-line block ×8, first 2 shown]
	v_mul_f64 v[193:194], v[142:143], s[16:17]
	v_mov_b32_e32 v156, v72
	v_add_f64 v[234:235], v[118:119], v[234:235]
	v_add_f64 v[246:247], v[118:119], v[246:247]
	v_fma_f64 v[252:253], v[213:214], s[26:27], v[217:218]
	v_fma_f64 v[217:218], v[213:214], s[26:27], -v[217:218]
	v_fma_f64 v[231:232], v[213:214], s[14:15], -v[211:212]
	v_fma_f64 v[211:212], v[213:214], s[14:15], v[211:212]
	v_add_f64 v[213:214], v[118:119], v[203:204]
	v_add_f64 v[203:204], v[118:119], v[240:241]
	;; [unrolled: 1-line block ×5, first 2 shown]
	buffer_store_dword v118, off, s[40:43], 0 offset:36 ; 4-byte Folded Spill
	buffer_store_dword v119, off, s[40:43], 0 offset:40 ; 4-byte Folded Spill
	v_add_f64 v[205:206], v[116:117], v[252:253]
	v_add_f64 v[217:218], v[116:117], v[217:218]
	v_add_f64 v[231:232], v[116:117], v[231:232]
	v_add_f64 v[116:117], v[116:117], v[211:212]
	v_mul_f64 v[252:253], v[161:162], s[4:5]
	buffer_store_dword v116, off, s[40:43], 0 offset:20 ; 4-byte Folded Spill
	buffer_store_dword v117, off, s[40:43], 0 offset:24 ; 4-byte Folded Spill
	v_fma_f64 v[116:117], v[132:133], s[0:1], v[252:253]
	v_add_f64 v[116:117], v[116:117], v[203:204]
	v_mul_f64 v[203:204], v[146:147], s[36:37]
	v_fma_f64 v[118:119], v[124:125], s[4:5], v[203:204]
	v_fma_f64 v[203:204], v[124:125], s[4:5], -v[203:204]
	v_add_f64 v[118:119], v[118:119], v[205:206]
	v_mul_f64 v[205:206], v[128:129], s[22:23]
	v_add_f64 v[203:204], v[203:204], v[217:218]
	v_fma_f64 v[254:255], v[126:127], s[28:29], v[205:206]
	v_fma_f64 v[205:206], v[126:127], s[18:19], v[205:206]
	v_add_f64 v[116:117], v[254:255], v[116:117]
	v_mul_f64 v[254:255], v[165:166], s[18:19]
	v_fma_f64 v[211:212], v[120:121], s[22:23], v[254:255]
	v_fma_f64 v[217:218], v[120:121], s[22:23], -v[254:255]
	v_add_f64 v[118:119], v[211:212], v[118:119]
	v_mul_f64 v[211:212], v[183:184], s[14:15]
	v_add_f64 v[203:204], v[217:218], v[203:204]
	v_fma_f64 v[215:216], v[122:123], s[6:7], v[211:212]
	v_fma_f64 v[211:212], v[122:123], s[30:31], v[211:212]
	v_add_f64 v[116:117], v[215:216], v[116:117]
	v_mul_f64 v[215:216], v[179:180], s[30:31]
	v_fma_f64 v[244:245], v[140:141], s[14:15], v[215:216]
	v_add_f64 v[244:245], v[244:245], v[118:119]
	v_fma_f64 v[118:119], v[159:160], s[38:39], v[191:192]
	v_fma_f64 v[191:192], v[159:160], s[16:17], v[191:192]
	v_add_f64 v[118:119], v[118:119], v[116:117]
	v_fma_f64 v[116:117], v[163:164], s[20:21], v[193:194]
	v_fma_f64 v[193:194], v[163:164], s[20:21], -v[193:194]
	v_add_f64 v[116:117], v[116:117], v[244:245]
	v_fma_f64 v[244:245], v[132:133], s[36:37], v[252:253]
	v_add_f64 v[234:235], v[244:245], v[234:235]
	v_add_f64 v[205:206], v[205:206], v[234:235]
	;; [unrolled: 1-line block ×3, first 2 shown]
	v_fma_f64 v[211:212], v[140:141], s[14:15], -v[215:216]
	v_add_f64 v[205:206], v[191:192], v[205:206]
	v_add_f64 v[203:204], v[211:212], v[203:204]
	v_mul_f64 v[191:192], v[161:162], s[14:15]
	v_mul_f64 v[211:212], v[128:129], s[20:21]
	v_add_f64 v[203:204], v[193:194], v[203:204]
	v_add_f64 v[191:192], v[197:198], v[191:192]
	v_mul_f64 v[193:194], v[124:125], s[14:15]
	v_add_f64 v[197:198], v[201:202], v[211:212]
	v_mul_f64 v[211:212], v[120:121], s[20:21]
	v_add_f64 v[191:192], v[191:192], v[221:222]
	v_add_f64 v[193:194], v[193:194], -v[195:196]
	v_add_f64 v[195:196], v[211:212], -v[199:200]
	v_mul_f64 v[211:212], v[183:184], s[22:23]
	v_add_f64 v[191:192], v[197:198], v[191:192]
	v_add_f64 v[193:194], v[193:194], v[219:220]
	;; [unrolled: 1-line block ×3, first 2 shown]
	v_mul_f64 v[211:212], v[140:141], s[22:23]
	v_add_f64 v[193:194], v[195:196], v[193:194]
	v_mul_f64 v[195:196], v[163:164], s[26:27]
	v_add_f64 v[191:192], v[201:202], v[191:192]
	v_add_f64 v[199:200], v[211:212], -v[208:209]
	v_mul_f64 v[211:212], v[177:178], s[26:27]
	v_add_f64 v[195:196], v[195:196], -v[175:176]
	v_add_f64 v[197:198], v[199:200], v[193:194]
	v_mul_f64 v[199:200], v[146:147], s[18:19]
	v_add_f64 v[209:210], v[144:145], v[211:212]
	v_fma_f64 v[201:202], v[124:125], s[22:23], -v[199:200]
	v_add_f64 v[193:194], v[209:210], v[191:192]
	v_add_f64 v[191:192], v[195:196], v[197:198]
	v_mul_f64 v[195:196], v[161:162], s[22:23]
	v_add_f64 v[201:202], v[201:202], v[231:232]
	v_mov_b32_e32 v231, v134
	s_clause 0x1
	buffer_load_dword v134, off, s[40:43], 0 offset:76
	buffer_load_dword v135, off, s[40:43], 0 offset:80
	v_fma_f64 v[197:198], v[132:133], s[18:19], v[195:196]
	v_mov_b32_e32 v232, v207
	v_mul_f64 v[207:208], v[128:129], s[26:27]
	v_add_f64 v[197:198], v[197:198], v[246:247]
	v_mov_b32_e32 v247, v155
	v_mov_b32_e32 v246, v154
	;; [unrolled: 1-line block ×4, first 2 shown]
	v_fma_f64 v[209:210], v[126:127], s[34:35], v[207:208]
	v_mul_f64 v[152:153], v[179:180], s[38:39]
	v_add_f64 v[197:198], v[209:210], v[197:198]
	v_mul_f64 v[209:210], v[165:166], s[34:35]
	v_fma_f64 v[211:212], v[120:121], s[26:27], -v[209:210]
	v_add_f64 v[201:202], v[211:212], v[201:202]
	v_mul_f64 v[211:212], v[183:184], s[20:21]
	v_fma_f64 v[215:216], v[122:123], s[38:39], v[211:212]
	v_add_f64 v[197:198], v[215:216], v[197:198]
	s_waitcnt vmcnt(0)
	v_add_f64 v[154:155], v[213:214], v[134:135]
	s_clause 0x1
	buffer_load_dword v134, off, s[40:43], 0 offset:68
	buffer_load_dword v135, off, s[40:43], 0 offset:72
	v_fma_f64 v[213:214], v[140:141], s[20:21], -v[152:153]
	v_add_f64 v[150:151], v[154:155], v[150:151]
	v_add_f64 v[201:202], v[213:214], v[201:202]
	;; [unrolled: 1-line block ×6, first 2 shown]
	s_waitcnt vmcnt(0)
	v_add_f64 v[130:131], v[130:131], v[134:135]
	v_add_f64 v[130:131], v[130:131], v[148:149]
	v_mul_f64 v[148:149], v[161:162], s[26:27]
	v_add_f64 v[130:131], v[130:131], v[171:172]
	v_mul_f64 v[171:172], v[146:147], s[34:35]
	v_fma_f64 v[154:155], v[132:133], s[34:35], v[148:149]
	v_add_f64 v[130:131], v[130:131], v[187:188]
	v_fma_f64 v[173:174], v[124:125], s[26:27], -v[171:172]
	v_mul_f64 v[187:188], v[128:129], s[14:15]
	v_add_f64 v[154:155], v[154:155], v[238:239]
	v_add_f64 v[130:131], v[130:131], v[181:182]
	;; [unrolled: 1-line block ×3, first 2 shown]
	v_mov_b32_e32 v227, v225
	v_mov_b32_e32 v225, v233
	s_clause 0x2
	buffer_load_dword v233, off, s[40:43], 0
	buffer_load_dword v134, off, s[40:43], 0 offset:44
	buffer_load_dword v135, off, s[40:43], 0 offset:48
	v_mov_b32_e32 v228, v223
	v_mov_b32_e32 v223, v136
	v_fma_f64 v[189:190], v[126:127], s[30:31], v[187:188]
	v_mul_f64 v[181:182], v[165:166], s[30:31]
	v_mul_f64 v[165:166], v[165:166], s[0:1]
	v_add_f64 v[130:131], v[130:131], v[167:168]
	v_mul_f64 v[167:168], v[183:184], s[4:5]
	v_add_f64 v[154:155], v[189:190], v[154:155]
	v_fma_f64 v[185:186], v[120:121], s[14:15], -v[181:182]
	v_fma_f64 v[169:170], v[122:123], s[0:1], v[167:168]
	v_add_f64 v[173:174], v[185:186], v[173:174]
	v_add_f64 v[154:155], v[169:170], v[154:155]
	s_waitcnt vmcnt(0)
	v_add_f64 v[144:145], v[150:151], v[134:135]
	s_clause 0x3
	buffer_load_dword v134, off, s[40:43], 0 offset:60
	buffer_load_dword v135, off, s[40:43], 0 offset:64
	;; [unrolled: 1-line block ×4, first 2 shown]
	s_waitcnt vmcnt(2)
	v_add_f64 v[130:131], v[130:131], v[134:135]
	v_mul_f64 v[134:135], v[161:162], s[20:21]
	s_waitcnt vmcnt(0)
	v_add_f64 v[136:137], v[144:145], v[136:137]
	v_mul_f64 v[161:162], v[179:180], s[0:1]
	v_add_f64 v[138:139], v[130:131], v[157:158]
	v_mul_f64 v[130:131], v[146:147], s[38:39]
	v_fma_f64 v[150:151], v[132:133], s[38:39], v[134:135]
	v_fma_f64 v[134:135], v[132:133], s[16:17], v[134:135]
	v_fma_f64 v[169:170], v[140:141], s[4:5], -v[161:162]
	v_mul_f64 v[146:147], v[128:129], s[4:5]
	v_fma_f64 v[144:145], v[124:125], s[20:21], -v[130:131]
	v_fma_f64 v[130:131], v[124:125], s[20:21], v[130:131]
	v_add_f64 v[134:135], v[134:135], v[240:241]
	v_add_f64 v[150:151], v[150:151], v[236:237]
	;; [unrolled: 1-line block ×3, first 2 shown]
	v_fma_f64 v[173:174], v[126:127], s[0:1], v[146:147]
	v_fma_f64 v[146:147], v[126:127], s[36:37], v[146:147]
	v_add_f64 v[144:145], v[144:145], v[248:249]
	v_add_f64 v[130:131], v[130:131], v[242:243]
	v_mov_b32_e32 v243, v76
	v_mov_b32_e32 v242, v75
	;; [unrolled: 1-line block ×4, first 2 shown]
	s_clause 0x1
	buffer_load_dword v72, off, s[40:43], 0 offset:28
	buffer_load_dword v73, off, s[40:43], 0 offset:32
	v_add_f64 v[150:151], v[173:174], v[150:151]
	v_fma_f64 v[173:174], v[120:121], s[4:5], -v[165:166]
	v_add_f64 v[134:135], v[146:147], v[134:135]
	v_fma_f64 v[146:147], v[120:121], s[4:5], v[165:166]
	v_mov_b32_e32 v74, v77
	v_mov_b32_e32 v75, v78
	v_add_f64 v[144:145], v[173:174], v[144:145]
	v_mul_f64 v[173:174], v[183:184], s[26:27]
	v_add_f64 v[130:131], v[146:147], v[130:131]
	v_fma_f64 v[175:176], v[122:123], s[24:25], v[173:174]
	v_fma_f64 v[146:147], v[122:123], s[34:35], v[173:174]
	v_add_f64 v[150:151], v[175:176], v[150:151]
	v_mul_f64 v[175:176], v[179:180], s[24:25]
	v_add_f64 v[146:147], v[146:147], v[134:135]
	v_fma_f64 v[134:135], v[140:141], s[26:27], v[175:176]
	v_fma_f64 v[179:180], v[140:141], s[26:27], -v[175:176]
	v_add_f64 v[165:166], v[134:135], v[130:131]
	v_fma_f64 v[130:131], v[132:133], s[24:25], v[148:149]
	v_fma_f64 v[134:135], v[126:127], s[6:7], v[187:188]
	;; [unrolled: 1-line block ×5, first 2 shown]
	v_add_f64 v[144:145], v[179:180], v[144:145]
	s_waitcnt vmcnt(0)
	v_add_f64 v[130:131], v[130:131], v[72:73]
	s_clause 0x1
	buffer_load_dword v72, off, s[40:43], 0 offset:36
	buffer_load_dword v73, off, s[40:43], 0 offset:40
	v_add_f64 v[130:131], v[134:135], v[130:131]
	v_fma_f64 v[134:135], v[124:125], s[26:27], v[171:172]
	v_fma_f64 v[124:125], v[124:125], s[22:23], v[199:200]
	v_add_f64 v[134:135], v[134:135], v[250:251]
	v_add_f64 v[134:135], v[148:149], v[134:135]
	v_fma_f64 v[148:149], v[122:123], s[36:37], v[167:168]
	v_fma_f64 v[122:123], v[122:123], s[16:17], v[211:212]
	v_mul_f64 v[167:168], v[177:178], s[14:15]
	v_add_f64 v[148:149], v[148:149], v[130:131]
	v_fma_f64 v[130:131], v[132:133], s[28:29], v[195:196]
	v_fma_f64 v[132:133], v[140:141], s[4:5], v[161:162]
	v_fma_f64 v[173:174], v[159:160], s[30:31], v[167:168]
	v_fma_f64 v[167:168], v[159:160], s[6:7], v[167:168]
	v_fma_f64 v[140:141], v[140:141], s[20:21], v[152:153]
	v_mul_f64 v[152:153], v[142:143], s[30:31]
	v_add_f64 v[161:162], v[132:133], v[134:135]
	v_mul_f64 v[134:135], v[177:178], s[22:23]
	v_mul_f64 v[132:133], v[177:178], s[4:5]
	v_fma_f64 v[175:176], v[159:160], s[28:29], v[134:135]
	v_fma_f64 v[171:172], v[159:160], s[36:37], v[132:133]
	s_waitcnt vmcnt(0)
	v_add_f64 v[130:131], v[130:131], v[72:73]
	s_clause 0x1
	buffer_load_dword v72, off, s[40:43], 0 offset:20
	buffer_load_dword v73, off, s[40:43], 0 offset:24
	v_add_f64 v[126:127], v[126:127], v[130:131]
	v_fma_f64 v[130:131], v[159:160], s[18:19], v[134:135]
	v_fma_f64 v[159:160], v[159:160], s[0:1], v[132:133]
	v_mul_f64 v[132:133], v[142:143], s[36:37]
	v_add_f64 v[177:178], v[122:123], v[126:127]
	v_add_f64 v[126:127], v[130:131], v[154:155]
	;; [unrolled: 1-line block ×3, first 2 shown]
	s_waitcnt vmcnt(0)
	v_add_f64 v[124:125], v[124:125], v[72:73]
	s_clause 0x1
	buffer_load_dword v72, off, s[40:43], 0 offset:12
	buffer_load_dword v73, off, s[40:43], 0 offset:16
	v_add_f64 v[120:121], v[120:121], v[124:125]
	v_mul_f64 v[124:125], v[142:143], s[18:19]
	v_fma_f64 v[142:143], v[163:164], s[14:15], -v[152:153]
	v_fma_f64 v[152:153], v[163:164], s[14:15], v[152:153]
	v_add_f64 v[181:182], v[140:141], v[120:121]
	v_fma_f64 v[134:135], v[163:164], s[22:23], -v[124:125]
	v_fma_f64 v[179:180], v[163:164], s[22:23], v[124:125]
	v_fma_f64 v[124:125], v[163:164], s[4:5], -v[132:133]
	v_fma_f64 v[163:164], v[163:164], s[4:5], v[132:133]
	v_add_f64 v[132:133], v[142:143], v[144:145]
	v_add_f64 v[142:143], v[175:176], v[148:149]
	v_lshl_add_u32 v148, v223, 4, v227
	v_add_f64 v[140:141], v[179:180], v[161:162]
	v_add_f64 v[120:121], v[124:125], v[201:202]
	;; [unrolled: 1-line block ×5, first 2 shown]
	s_waitcnt vmcnt(0)
	v_add_f64 v[130:131], v[136:137], v[72:73]
	s_clause 0x1
	buffer_load_dword v72, off, s[40:43], 0 offset:4
	buffer_load_dword v73, off, s[40:43], 0 offset:8
	v_add_f64 v[136:137], v[152:153], v[165:166]
	s_waitcnt vmcnt(0)
	v_add_f64 v[128:129], v[138:139], v[72:73]
	v_add_f64 v[138:139], v[167:168], v[146:147]
	;; [unrolled: 1-line block ×3, first 2 shown]
	ds_write_b128 v224, v[128:131]
	ds_write_b128 v148, v[191:194] offset:160
	ds_write_b128 v148, v[120:123] offset:320
	;; [unrolled: 1-line block ×10, first 2 shown]
.LBB0_5:
	s_or_b32 exec_lo, exec_lo, s33
	s_add_u32 s0, s12, 0x6e0
	s_addc_u32 s1, s13, 0
	s_waitcnt lgkmcnt(0)
	s_waitcnt_vscnt null, 0x0
	s_barrier
	buffer_gl0_inv
	s_clause 0x9
	global_load_dwordx4 v[116:119], v[74:75], off offset:1760
	global_load_dwordx4 v[120:123], v226, s[0:1] offset:880
	global_load_dwordx4 v[124:127], v226, s[0:1] offset:176
	global_load_dwordx4 v[128:131], v226, s[0:1] offset:1056
	global_load_dwordx4 v[132:135], v226, s[0:1] offset:352
	global_load_dwordx4 v[136:139], v226, s[0:1] offset:1232
	global_load_dwordx4 v[140:143], v226, s[0:1] offset:528
	global_load_dwordx4 v[144:147], v226, s[0:1] offset:1408
	global_load_dwordx4 v[148:151], v226, s[0:1] offset:704
	global_load_dwordx4 v[152:155], v226, s[0:1] offset:1584
	ds_read_b128 v[157:160], v224
	ds_read_b128 v[161:164], v224 offset:880
	ds_read_b128 v[165:168], v224 offset:176
	;; [unrolled: 1-line block ×9, first 2 shown]
	s_mov_b32 s4, 0x134454ff
	s_mov_b32 s5, 0xbfee6f0e
	;; [unrolled: 1-line block ×8, first 2 shown]
	s_waitcnt vmcnt(9) lgkmcnt(9)
	v_mul_f64 v[197:198], v[159:160], v[118:119]
	v_mul_f64 v[118:119], v[157:158], v[118:119]
	s_waitcnt vmcnt(8) lgkmcnt(8)
	v_mul_f64 v[199:200], v[163:164], v[122:123]
	v_mul_f64 v[122:123], v[161:162], v[122:123]
	;; [unrolled: 3-line block ×10, first 2 shown]
	v_fma_f64 v[157:158], v[157:158], v[116:117], -v[197:198]
	v_fma_f64 v[159:160], v[159:160], v[116:117], v[118:119]
	v_fma_f64 v[116:117], v[161:162], v[120:121], -v[199:200]
	v_fma_f64 v[118:119], v[163:164], v[120:121], v[122:123]
	;; [unrolled: 2-line block ×10, first 2 shown]
	ds_write_b128 v224, v[157:160]
	ds_write_b128 v224, v[116:119] offset:880
	ds_write_b128 v224, v[120:123] offset:176
	ds_write_b128 v224, v[124:127] offset:1056
	ds_write_b128 v224, v[128:131] offset:352
	ds_write_b128 v224, v[132:135] offset:1232
	ds_write_b128 v224, v[136:139] offset:528
	ds_write_b128 v224, v[140:143] offset:1408
	ds_write_b128 v224, v[144:147] offset:704
	ds_write_b128 v224, v[148:151] offset:1584
	s_waitcnt lgkmcnt(0)
	s_barrier
	buffer_gl0_inv
	ds_read_b128 v[116:119], v224 offset:880
	ds_read_b128 v[120:123], v224
	ds_read_b128 v[124:127], v224 offset:176
	ds_read_b128 v[128:131], v224 offset:1056
	;; [unrolled: 1-line block ×8, first 2 shown]
	s_waitcnt lgkmcnt(0)
	s_barrier
	buffer_gl0_inv
	v_add_f64 v[116:117], v[120:121], -v[116:117]
	v_add_f64 v[118:119], v[122:123], -v[118:119]
	;; [unrolled: 1-line block ×10, first 2 shown]
	v_fma_f64 v[120:121], v[120:121], 2.0, -v[116:117]
	v_fma_f64 v[122:123], v[122:123], 2.0, -v[118:119]
	;; [unrolled: 1-line block ×10, first 2 shown]
	ds_write_b128 v225, v[116:119] offset:16
	ds_write_b128 v228, v[128:131] offset:16
	;; [unrolled: 1-line block ×5, first 2 shown]
	ds_write_b128 v225, v[120:123]
	ds_write_b128 v228, v[124:127]
	;; [unrolled: 1-line block ×5, first 2 shown]
	s_waitcnt lgkmcnt(0)
	s_barrier
	buffer_gl0_inv
	ds_read_b128 v[116:119], v224 offset:352
	ds_read_b128 v[120:123], v224 offset:704
	;; [unrolled: 1-line block ×8, first 2 shown]
	s_waitcnt lgkmcnt(7)
	v_mul_f64 v[148:149], v[50:51], v[118:119]
	v_mul_f64 v[50:51], v[50:51], v[116:117]
	s_waitcnt lgkmcnt(6)
	v_mul_f64 v[150:151], v[46:47], v[122:123]
	v_mul_f64 v[46:47], v[46:47], v[120:121]
	s_waitcnt lgkmcnt(5)
	v_mul_f64 v[152:153], v[42:43], v[126:127]
	s_waitcnt lgkmcnt(4)
	v_mul_f64 v[154:155], v[70:71], v[128:129]
	v_mul_f64 v[157:158], v[42:43], v[124:125]
	;; [unrolled: 1-line block ×3, first 2 shown]
	s_waitcnt lgkmcnt(3)
	v_mul_f64 v[159:160], v[66:67], v[134:135]
	v_mul_f64 v[66:67], v[66:67], v[132:133]
	s_waitcnt lgkmcnt(2)
	v_mul_f64 v[161:162], v[62:63], v[138:139]
	v_mul_f64 v[62:63], v[62:63], v[136:137]
	;; [unrolled: 3-line block ×4, first 2 shown]
	v_fma_f64 v[116:117], v[48:49], v[116:117], v[148:149]
	v_fma_f64 v[50:51], v[48:49], v[118:119], -v[50:51]
	v_fma_f64 v[118:119], v[44:45], v[120:121], v[150:151]
	v_fma_f64 v[120:121], v[44:45], v[122:123], -v[46:47]
	;; [unrolled: 2-line block ×3, first 2 shown]
	v_fma_f64 v[40:41], v[40:41], v[126:127], -v[157:158]
	v_fma_f64 v[68:69], v[68:69], v[128:129], v[70:71]
	v_fma_f64 v[70:71], v[64:65], v[132:133], v[159:160]
	v_fma_f64 v[64:65], v[64:65], v[134:135], -v[66:67]
	v_fma_f64 v[66:67], v[60:61], v[136:137], v[161:162]
	v_fma_f64 v[60:61], v[60:61], v[138:139], -v[62:63]
	;; [unrolled: 2-line block ×4, first 2 shown]
	ds_read_b128 v[42:45], v224
	ds_read_b128 v[46:49], v224 offset:176
	s_waitcnt lgkmcnt(0)
	s_barrier
	buffer_gl0_inv
	v_add_f64 v[132:133], v[116:117], -v[118:119]
	v_add_f64 v[138:139], v[118:119], -v[116:117]
	v_add_f64 v[126:127], v[118:119], v[122:123]
	v_add_f64 v[152:153], v[50:51], v[124:125]
	;; [unrolled: 1-line block ×3, first 2 shown]
	v_add_f64 v[134:135], v[68:69], -v[122:123]
	v_add_f64 v[136:137], v[116:117], v[68:69]
	v_add_f64 v[128:129], v[50:51], -v[124:125]
	v_add_f64 v[130:131], v[120:121], -v[40:41]
	;; [unrolled: 1-line block ×3, first 2 shown]
	v_add_f64 v[157:158], v[66:67], v[62:63]
	v_add_f64 v[165:166], v[60:61], v[56:57]
	;; [unrolled: 1-line block ×6, first 2 shown]
	v_add_f64 v[116:117], v[116:117], -v[68:69]
	v_add_f64 v[146:147], v[118:119], -v[122:123]
	v_add_f64 v[148:149], v[50:51], -v[120:121]
	v_add_f64 v[150:151], v[124:125], -v[40:41]
	v_add_f64 v[50:51], v[120:121], -v[50:51]
	v_add_f64 v[154:155], v[40:41], -v[124:125]
	v_add_f64 v[159:160], v[46:47], v[70:71]
	v_add_f64 v[163:164], v[64:65], -v[54:55]
	v_add_f64 v[169:170], v[60:61], -v[56:57]
	;; [unrolled: 1-line block ×5, first 2 shown]
	v_add_f64 v[179:180], v[48:49], v[64:65]
	v_add_f64 v[70:71], v[70:71], -v[58:59]
	v_add_f64 v[181:182], v[66:67], -v[62:63]
	v_fma_f64 v[126:127], v[126:127], -0.5, v[42:43]
	v_fma_f64 v[42:43], v[136:137], -0.5, v[42:43]
	;; [unrolled: 1-line block ×5, first 2 shown]
	v_add_f64 v[52:53], v[52:53], v[118:119]
	v_fma_f64 v[46:47], v[161:162], -0.5, v[46:47]
	v_add_f64 v[118:119], v[132:133], v[134:135]
	v_fma_f64 v[132:133], v[165:166], -0.5, v[48:49]
	v_fma_f64 v[48:49], v[167:168], -0.5, v[48:49]
	v_add_f64 v[177:178], v[62:63], -v[58:59]
	v_add_f64 v[183:184], v[64:65], -v[60:61]
	;; [unrolled: 1-line block ×5, first 2 shown]
	v_add_f64 v[134:135], v[138:139], v[140:141]
	v_add_f64 v[120:121], v[142:143], v[120:121]
	;; [unrolled: 1-line block ×7, first 2 shown]
	v_fma_f64 v[148:149], v[128:129], s[4:5], v[126:127]
	v_fma_f64 v[126:127], v[128:129], s[12:13], v[126:127]
	;; [unrolled: 1-line block ×16, first 2 shown]
	v_add_f64 v[142:143], v[175:176], v[177:178]
	v_add_f64 v[136:137], v[183:184], v[136:137]
	;; [unrolled: 1-line block ×7, first 2 shown]
	v_fma_f64 v[60:61], v[130:131], s[0:1], v[148:149]
	v_fma_f64 v[62:63], v[130:131], s[6:7], v[126:127]
	;; [unrolled: 1-line block ×16, first 2 shown]
	s_mov_b32 s0, 0x372fe950
	s_mov_b32 s1, 0x3fd3c6ef
	v_add_f64 v[40:41], v[52:53], v[68:69]
	v_add_f64 v[42:43], v[64:65], v[124:125]
	;; [unrolled: 1-line block ×4, first 2 shown]
	v_fma_f64 v[60:61], v[118:119], s[0:1], v[60:61]
	v_fma_f64 v[48:49], v[118:119], s[0:1], v[62:63]
	;; [unrolled: 1-line block ×16, first 2 shown]
	ds_write_b128 v230, v[40:43]
	ds_write_b128 v230, v[60:63] offset:32
	ds_write_b128 v230, v[56:59] offset:64
	;; [unrolled: 1-line block ×4, first 2 shown]
	ds_write_b128 v229, v[52:55]
	ds_write_b128 v229, v[64:67] offset:32
	ds_write_b128 v229, v[68:71] offset:64
	;; [unrolled: 1-line block ×4, first 2 shown]
	s_waitcnt lgkmcnt(0)
	s_barrier
	buffer_gl0_inv
	s_and_saveexec_b32 s0, vcc_lo
	s_cbranch_execz .LBB0_7
; %bb.6:
	ds_read_b128 v[40:43], v224
	ds_read_b128 v[60:63], v224 offset:160
	ds_read_b128 v[56:59], v224 offset:320
	ds_read_b128 v[44:47], v224 offset:480
	ds_read_b128 v[48:51], v224 offset:640
	ds_read_b128 v[52:55], v224 offset:800
	ds_read_b128 v[64:67], v224 offset:960
	ds_read_b128 v[68:71], v224 offset:1120
	ds_read_b128 v[116:119], v224 offset:1280
	ds_read_b128 v[120:123], v224 offset:1440
	ds_read_b128 v[112:115], v224 offset:1600
.LBB0_7:
	s_or_b32 exec_lo, exec_lo, s0
	s_and_saveexec_b32 s33, vcc_lo
	s_cbranch_execz .LBB0_9
; %bb.8:
	s_waitcnt lgkmcnt(9)
	v_mul_f64 v[124:125], v[242:243], v[62:63]
	s_waitcnt lgkmcnt(0)
	v_mul_f64 v[126:127], v[110:111], v[114:115]
	v_mul_f64 v[74:75], v[242:243], v[60:61]
	;; [unrolled: 1-line block ×11, first 2 shown]
	s_mov_b32 s22, 0xfd768dbf
	s_mov_b32 s23, 0xbfd207e7
	v_mul_f64 v[128:129], v[98:99], v[54:55]
	v_mul_f64 v[130:131], v[94:95], v[66:67]
	;; [unrolled: 1-line block ×4, first 2 shown]
	s_mov_b32 s14, 0xbb3a28a1
	s_mov_b32 s12, 0xf8bb580b
	;; [unrolled: 1-line block ×4, first 2 shown]
	v_fma_f64 v[124:125], v[240:241], v[60:61], v[124:125]
	v_fma_f64 v[60:61], v[108:109], v[112:113], v[126:127]
	v_fma_f64 v[72:73], v[240:241], v[62:63], -v[74:75]
	v_fma_f64 v[62:63], v[108:109], v[114:115], -v[110:111]
	v_mul_f64 v[74:75], v[90:91], v[48:49]
	v_mul_f64 v[90:91], v[246:247], v[46:47]
	;; [unrolled: 1-line block ×4, first 2 shown]
	v_fma_f64 v[110:111], v[100:101], v[56:57], v[136:137]
	v_fma_f64 v[56:57], v[104:105], v[120:121], v[138:139]
	v_fma_f64 v[100:101], v[100:101], v[58:59], -v[102:103]
	v_fma_f64 v[58:59], v[104:105], v[122:123], -v[106:107]
	v_fma_f64 v[48:49], v[88:89], v[48:49], v[132:133]
	v_fma_f64 v[68:69], v[84:85], v[68:69], v[134:135]
	v_fma_f64 v[70:71], v[84:85], v[70:71], -v[86:87]
	v_fma_f64 v[76:77], v[244:245], v[46:47], -v[78:79]
	s_mov_b32 s13, 0x3fe14ced
	s_mov_b32 s19, 0xbfeeb42a
	v_fma_f64 v[52:53], v[96:97], v[52:53], v[128:129]
	v_fma_f64 v[54:55], v[96:97], v[54:55], -v[98:99]
	v_fma_f64 v[66:67], v[92:93], v[66:67], -v[94:95]
	s_mov_b32 s4, 0x7f775887
	s_mov_b32 s6, 0x8764f0ba
	v_add_f64 v[102:103], v[124:125], -v[60:61]
	v_add_f64 v[84:85], v[124:125], v[60:61]
	v_add_f64 v[104:105], v[72:73], -v[62:63]
	v_fma_f64 v[50:51], v[88:89], v[50:51], -v[74:75]
	v_fma_f64 v[74:75], v[244:245], v[44:45], v[90:91]
	v_fma_f64 v[44:45], v[80:81], v[116:117], v[108:109]
	v_fma_f64 v[46:47], v[80:81], v[118:119], -v[82:83]
	v_add_f64 v[82:83], v[72:73], v[62:63]
	v_add_f64 v[78:79], v[110:111], -v[56:57]
	v_add_f64 v[112:113], v[110:111], v[56:57]
	v_add_f64 v[80:81], v[100:101], -v[58:59]
	v_add_f64 v[96:97], v[100:101], v[58:59]
	s_mov_b32 s5, 0xbfe4f49e
	s_mov_b32 s7, 0x3feaeb8c
	;; [unrolled: 1-line block ×4, first 2 shown]
	v_fma_f64 v[64:65], v[92:93], v[64:65], v[130:131]
	v_add_f64 v[92:93], v[48:49], -v[68:69]
	s_mov_b32 s0, 0x640f44db
	s_mov_b32 s1, 0xbfc2375f
	;; [unrolled: 1-line block ×4, first 2 shown]
	v_mul_f64 v[86:87], v[102:103], s[22:23]
	v_mul_f64 v[136:137], v[102:103], s[14:15]
	;; [unrolled: 1-line block ×3, first 2 shown]
	v_add_f64 v[106:107], v[50:51], -v[70:71]
	v_mul_f64 v[148:149], v[104:105], s[14:15]
	v_add_f64 v[94:95], v[74:75], -v[44:45]
	v_add_f64 v[108:109], v[76:77], -v[46:47]
	v_add_f64 v[128:129], v[76:77], v[46:47]
	v_mul_f64 v[114:115], v[78:79], s[12:13]
	v_add_f64 v[134:135], v[74:75], v[44:45]
	v_mul_f64 v[116:117], v[80:81], s[12:13]
	v_mul_f64 v[163:164], v[102:103], s[16:17]
	;; [unrolled: 1-line block ×4, first 2 shown]
	s_mov_b32 s29, 0xbfe14ced
	s_mov_b32 s31, 0x3fd207e7
	;; [unrolled: 1-line block ×4, first 2 shown]
	v_add_f64 v[72:73], v[42:43], v[72:73]
	v_add_f64 v[124:125], v[40:41], v[124:125]
	;; [unrolled: 1-line block ×4, first 2 shown]
	v_fma_f64 v[122:123], v[82:83], s[18:19], v[86:87]
	v_fma_f64 v[86:87], v[82:83], s[18:19], -v[86:87]
	v_fma_f64 v[126:127], v[84:85], s[18:19], -v[88:89]
	v_fma_f64 v[88:89], v[84:85], s[18:19], v[88:89]
	v_fma_f64 v[167:168], v[82:83], s[4:5], v[136:137]
	v_mul_f64 v[142:143], v[94:95], s[14:15]
	v_mul_f64 v[150:151], v[108:109], s[14:15]
	;; [unrolled: 1-line block ×3, first 2 shown]
	v_fma_f64 v[152:153], v[96:97], s[6:7], v[114:115]
	v_fma_f64 v[114:115], v[96:97], s[6:7], -v[114:115]
	v_fma_f64 v[154:155], v[112:113], s[6:7], -v[116:117]
	v_fma_f64 v[116:117], v[112:113], s[6:7], v[116:117]
	v_mul_f64 v[146:147], v[106:107], s[24:25]
	v_mul_f64 v[161:162], v[94:95], s[28:29]
	;; [unrolled: 1-line block ×3, first 2 shown]
	v_fma_f64 v[181:182], v[84:85], s[4:5], -v[148:149]
	v_fma_f64 v[136:137], v[82:83], s[4:5], -v[136:137]
	v_fma_f64 v[148:149], v[84:85], s[4:5], v[148:149]
	v_fma_f64 v[185:186], v[96:97], s[0:1], v[165:166]
	v_fma_f64 v[189:190], v[84:85], s[0:1], -v[175:176]
	s_mov_b32 s20, 0xd9c712b6
	s_mov_b32 s21, 0x3fda9628
	v_add_f64 v[122:123], v[42:43], v[122:123]
	v_add_f64 v[86:87], v[42:43], v[86:87]
	;; [unrolled: 1-line block ×5, first 2 shown]
	v_fma_f64 v[179:180], v[128:129], s[4:5], v[142:143]
	v_fma_f64 v[183:184], v[134:135], s[4:5], -v[150:151]
	v_fma_f64 v[142:143], v[128:129], s[4:5], -v[142:143]
	v_fma_f64 v[150:151], v[134:135], s[4:5], v[150:151]
	v_add_f64 v[72:73], v[72:73], v[100:101]
	v_add_f64 v[110:111], v[124:125], v[110:111]
	v_mul_f64 v[159:160], v[92:93], s[22:23]
	v_mul_f64 v[171:172], v[108:109], s[28:29]
	;; [unrolled: 1-line block ×3, first 2 shown]
	v_fma_f64 v[100:101], v[120:121], s[20:21], v[140:141]
	v_fma_f64 v[187:188], v[132:133], s[20:21], -v[146:147]
	v_fma_f64 v[140:141], v[120:121], s[20:21], -v[140:141]
	;; [unrolled: 1-line block ×3, first 2 shown]
	v_fma_f64 v[146:147], v[132:133], s[20:21], v[146:147]
	v_fma_f64 v[165:166], v[96:97], s[0:1], -v[165:166]
	v_fma_f64 v[173:174], v[112:113], s[0:1], v[173:174]
	v_add_f64 v[136:137], v[42:43], v[136:137]
	v_add_f64 v[122:123], v[152:153], v[122:123]
	;; [unrolled: 1-line block ×5, first 2 shown]
	v_mul_f64 v[114:115], v[78:79], s[30:31]
	v_mul_f64 v[152:153], v[80:81], s[30:31]
	v_fma_f64 v[154:155], v[82:83], s[0:1], v[163:164]
	v_mul_f64 v[116:117], v[108:109], s[24:25]
	v_add_f64 v[148:149], v[40:41], v[148:149]
	v_add_f64 v[167:168], v[185:186], v[167:168]
	;; [unrolled: 1-line block ×3, first 2 shown]
	v_add_f64 v[90:91], v[52:53], -v[64:65]
	v_add_f64 v[98:99], v[54:55], -v[66:67]
	v_add_f64 v[72:73], v[72:73], v[76:77]
	v_add_f64 v[74:75], v[110:111], v[74:75]
	v_mul_f64 v[169:170], v[106:107], s[22:23]
	v_add_f64 v[181:182], v[40:41], v[181:182]
	v_fma_f64 v[189:190], v[134:135], s[6:7], -v[171:172]
	v_fma_f64 v[171:172], v[134:135], s[6:7], v[171:172]
	v_fma_f64 v[163:164], v[82:83], s[0:1], -v[163:164]
	v_fma_f64 v[76:77], v[120:121], s[18:19], -v[159:160]
	v_add_f64 v[136:137], v[165:166], v[136:137]
	v_add_f64 v[122:123], v[179:180], v[122:123]
	;; [unrolled: 1-line block ×5, first 2 shown]
	v_fma_f64 v[142:143], v[96:97], s[18:19], v[114:115]
	v_fma_f64 v[183:184], v[112:113], s[18:19], -v[152:153]
	v_add_f64 v[150:151], v[42:43], v[154:155]
	v_fma_f64 v[154:155], v[128:129], s[6:7], v[161:162]
	v_fma_f64 v[161:162], v[128:129], s[6:7], -v[161:162]
	v_add_f64 v[148:149], v[173:174], v[148:149]
	v_fma_f64 v[173:174], v[134:135], s[20:21], -v[116:117]
	v_mul_f64 v[157:158], v[90:91], s[24:25]
	v_fma_f64 v[114:115], v[96:97], s[18:19], -v[114:115]
	v_add_f64 v[50:51], v[72:73], v[50:51]
	v_add_f64 v[48:49], v[74:75], v[48:49]
	v_fma_f64 v[152:153], v[112:113], s[18:19], v[152:153]
	v_add_f64 v[181:182], v[191:192], v[181:182]
	v_mul_f64 v[72:73], v[104:105], s[28:29]
	v_add_f64 v[118:119], v[54:55], v[66:67]
	v_add_f64 v[130:131], v[52:53], v[64:65]
	v_fma_f64 v[116:117], v[134:135], s[20:21], v[116:117]
	v_mul_f64 v[138:139], v[90:91], s[16:17]
	v_add_f64 v[100:101], v[100:101], v[122:123]
	v_add_f64 v[86:87], v[140:141], v[86:87]
	;; [unrolled: 1-line block ×4, first 2 shown]
	v_mul_f64 v[126:127], v[92:93], s[28:29]
	v_fma_f64 v[140:141], v[84:85], s[0:1], v[175:176]
	v_fma_f64 v[146:147], v[128:129], s[20:21], v[177:178]
	v_add_f64 v[142:143], v[142:143], v[150:151]
	v_fma_f64 v[150:151], v[120:121], s[18:19], v[159:160]
	v_add_f64 v[154:155], v[154:155], v[167:168]
	v_mul_f64 v[167:168], v[106:107], s[28:29]
	v_add_f64 v[175:176], v[183:184], v[185:186]
	v_mul_f64 v[183:184], v[98:99], s[24:25]
	s_mov_b32 s25, 0xbfed1bb4
	v_fma_f64 v[185:186], v[132:133], s[18:19], -v[169:170]
	v_add_f64 v[110:111], v[161:162], v[136:137]
	v_fma_f64 v[136:137], v[132:133], s[18:19], v[169:170]
	v_add_f64 v[159:160], v[42:43], v[163:164]
	v_add_f64 v[148:149], v[171:172], v[148:149]
	v_mul_f64 v[74:75], v[104:105], s[24:25]
	v_add_f64 v[50:51], v[50:51], v[54:55]
	v_add_f64 v[48:49], v[48:49], v[52:53]
	;; [unrolled: 1-line block ×3, first 2 shown]
	v_fma_f64 v[52:53], v[84:85], s[6:7], v[72:73]
	v_fma_f64 v[165:166], v[118:119], s[20:21], v[157:158]
	v_fma_f64 v[104:105], v[118:119], s[20:21], -v[157:158]
	v_fma_f64 v[163:164], v[120:121], s[6:7], v[126:127]
	v_add_f64 v[140:141], v[40:41], v[140:141]
	v_fma_f64 v[157:158], v[128:129], s[20:21], -v[177:178]
	v_add_f64 v[142:143], v[146:147], v[142:143]
	v_fma_f64 v[72:73], v[84:85], s[6:7], -v[72:73]
	v_add_f64 v[146:147], v[150:151], v[154:155]
	v_mul_f64 v[150:151], v[102:103], s[24:25]
	v_fma_f64 v[169:170], v[132:133], s[6:7], -v[167:168]
	v_add_f64 v[171:172], v[173:174], v[175:176]
	v_mul_f64 v[102:103], v[102:103], s[28:29]
	v_fma_f64 v[173:174], v[130:131], s[20:21], -v[183:184]
	v_add_f64 v[76:77], v[76:77], v[110:111]
	v_fma_f64 v[110:111], v[130:131], s[20:21], v[183:184]
	v_add_f64 v[114:115], v[114:115], v[159:160]
	v_mul_f64 v[161:162], v[90:91], s[14:15]
	v_fma_f64 v[54:55], v[84:85], s[20:21], v[74:75]
	v_fma_f64 v[74:75], v[84:85], s[20:21], -v[74:75]
	v_add_f64 v[50:51], v[50:51], v[66:67]
	v_add_f64 v[48:49], v[48:49], v[64:65]
	;; [unrolled: 1-line block ×3, first 2 shown]
	v_mul_f64 v[84:85], v[94:95], s[30:31]
	v_mul_f64 v[94:95], v[94:95], s[16:17]
	v_add_f64 v[52:53], v[40:41], v[52:53]
	v_add_f64 v[140:141], v[152:153], v[140:141]
	v_mul_f64 v[152:153], v[78:79], s[14:15]
	v_add_f64 v[142:143], v[163:164], v[142:143]
	v_mul_f64 v[163:164], v[80:81], s[14:15]
	v_mul_f64 v[78:79], v[78:79], s[24:25]
	v_fma_f64 v[159:160], v[82:83], s[20:21], -v[150:151]
	v_mul_f64 v[80:81], v[80:81], s[24:25]
	v_add_f64 v[169:170], v[169:170], v[171:172]
	v_fma_f64 v[171:172], v[82:83], s[6:7], -v[102:103]
	v_fma_f64 v[150:151], v[82:83], s[20:21], v[150:151]
	v_fma_f64 v[82:83], v[82:83], s[6:7], v[102:103]
	v_fma_f64 v[126:127], v[120:121], s[6:7], -v[126:127]
	v_add_f64 v[114:115], v[157:158], v[114:115]
	v_fma_f64 v[157:158], v[132:133], s[6:7], v[167:168]
	v_add_f64 v[54:55], v[40:41], v[54:55]
	v_add_f64 v[74:75], v[40:41], v[74:75]
	;; [unrolled: 1-line block ×5, first 2 shown]
	v_mul_f64 v[72:73], v[92:93], s[26:27]
	v_mul_f64 v[92:93], v[92:93], s[14:15]
	v_fma_f64 v[68:69], v[128:129], s[18:19], v[84:85]
	v_add_f64 v[102:103], v[116:117], v[140:141]
	v_mul_f64 v[116:117], v[108:109], s[30:31]
	v_fma_f64 v[140:141], v[96:97], s[4:5], -v[152:153]
	v_mul_f64 v[108:109], v[108:109], s[16:17]
	v_fma_f64 v[181:182], v[96:97], s[20:21], -v[78:79]
	v_add_f64 v[159:160], v[42:43], v[159:160]
	v_fma_f64 v[183:184], v[112:113], s[20:21], v[80:81]
	v_fma_f64 v[167:168], v[112:113], s[4:5], v[163:164]
	v_add_f64 v[171:172], v[42:43], v[171:172]
	v_fma_f64 v[64:65], v[96:97], s[4:5], v[152:153]
	v_add_f64 v[66:67], v[42:43], v[150:151]
	v_fma_f64 v[150:151], v[112:113], s[4:5], -v[163:164]
	v_fma_f64 v[78:79], v[96:97], s[20:21], v[78:79]
	v_add_f64 v[42:43], v[42:43], v[82:83]
	v_fma_f64 v[80:81], v[112:113], s[20:21], -v[80:81]
	v_mul_f64 v[82:83], v[106:107], s[26:27]
	v_fma_f64 v[96:97], v[128:129], s[18:19], -v[84:85]
	v_mul_f64 v[106:107], v[106:107], s[14:15]
	v_fma_f64 v[152:153], v[128:129], s[0:1], -v[94:95]
	v_add_f64 v[46:47], v[50:51], v[46:47]
	v_add_f64 v[44:45], v[48:49], v[44:45]
	v_mul_f64 v[144:145], v[98:99], s[16:17]
	v_mul_f64 v[154:155], v[98:99], s[14:15]
	;; [unrolled: 1-line block ×4, first 2 shown]
	v_fma_f64 v[163:164], v[134:135], s[0:1], v[108:109]
	v_add_f64 v[136:137], v[136:137], v[148:149]
	v_add_f64 v[112:113], v[140:141], v[159:160]
	v_add_f64 v[52:53], v[183:184], v[52:53]
	v_fma_f64 v[140:141], v[134:135], s[18:19], v[116:117]
	v_add_f64 v[159:160], v[181:182], v[171:172]
	v_add_f64 v[54:55], v[167:168], v[54:55]
	;; [unrolled: 1-line block ×3, first 2 shown]
	v_fma_f64 v[66:67], v[134:135], s[18:19], -v[116:117]
	v_add_f64 v[70:71], v[150:151], v[74:75]
	v_fma_f64 v[74:75], v[128:129], s[0:1], v[94:95]
	v_add_f64 v[42:43], v[78:79], v[42:43]
	v_fma_f64 v[78:79], v[134:135], s[0:1], -v[108:109]
	v_add_f64 v[40:41], v[80:81], v[40:41]
	v_mul_f64 v[80:81], v[90:91], s[12:13]
	v_mul_f64 v[90:91], v[90:91], s[22:23]
	v_fma_f64 v[128:129], v[132:133], s[4:5], v[106:107]
	v_fma_f64 v[94:95], v[120:121], s[0:1], -v[72:73]
	v_fma_f64 v[108:109], v[132:133], s[0:1], v[82:83]
	v_add_f64 v[56:57], v[44:45], v[56:57]
	v_fma_f64 v[124:125], v[118:119], s[0:1], v[138:139]
	v_fma_f64 v[179:180], v[130:131], s[0:1], -v[144:145]
	v_fma_f64 v[138:139], v[118:119], s[0:1], -v[138:139]
	v_fma_f64 v[144:145], v[130:131], s[0:1], v[144:145]
	v_add_f64 v[96:97], v[96:97], v[112:113]
	v_fma_f64 v[112:113], v[120:121], s[4:5], -v[92:93]
	v_add_f64 v[48:49], v[163:164], v[52:53]
	v_add_f64 v[116:117], v[152:153], v[159:160]
	;; [unrolled: 1-line block ×3, first 2 shown]
	v_fma_f64 v[52:53], v[120:121], s[0:1], v[72:73]
	v_add_f64 v[54:55], v[68:69], v[64:65]
	v_fma_f64 v[64:65], v[132:133], s[0:1], -v[82:83]
	v_add_f64 v[66:67], v[66:67], v[70:71]
	v_fma_f64 v[68:69], v[120:121], s[4:5], v[92:93]
	v_add_f64 v[42:43], v[74:75], v[42:43]
	v_fma_f64 v[70:71], v[132:133], s[4:5], -v[106:107]
	v_add_f64 v[40:41], v[78:79], v[40:41]
	v_fma_f64 v[72:73], v[118:119], s[4:5], -v[161:162]
	v_add_f64 v[74:75], v[126:127], v[114:115]
	v_add_f64 v[114:115], v[46:47], v[58:59]
	v_add_f64 v[82:83], v[157:158], v[102:103]
	v_fma_f64 v[102:103], v[118:119], s[18:19], -v[90:91]
	v_fma_f64 v[92:93], v[118:119], s[6:7], -v[80:81]
	v_fma_f64 v[78:79], v[130:131], s[4:5], v[154:155]
	v_fma_f64 v[148:149], v[118:119], s[4:5], v[161:162]
	v_fma_f64 v[177:178], v[130:131], s[4:5], -v[154:155]
	v_add_f64 v[94:95], v[94:95], v[96:97]
	v_fma_f64 v[96:97], v[130:131], s[6:7], v[84:85]
	v_fma_f64 v[80:81], v[118:119], s[6:7], v[80:81]
	v_add_f64 v[106:107], v[112:113], v[116:117]
	v_fma_f64 v[112:113], v[130:131], s[18:19], v[98:99]
	v_add_f64 v[116:117], v[128:129], v[48:49]
	v_add_f64 v[108:109], v[108:109], v[50:51]
	;; [unrolled: 1-line block ×3, first 2 shown]
	v_fma_f64 v[84:85], v[130:131], s[6:7], -v[84:85]
	v_add_f64 v[126:127], v[64:65], v[66:67]
	v_fma_f64 v[90:91], v[118:119], s[18:19], v[90:91]
	v_add_f64 v[118:119], v[68:69], v[42:43]
	v_fma_f64 v[98:99], v[130:131], s[18:19], -v[98:99]
	v_add_f64 v[128:129], v[70:71], v[40:41]
	v_add_f64 v[58:59], v[72:73], v[74:75]
	;; [unrolled: 1-line block ×23, first 2 shown]
	v_lshl_add_u32 v60, v223, 4, v227
	ds_write_b128 v224, v[70:73]
	ds_write_b128 v60, v[66:69] offset:160
	ds_write_b128 v60, v[62:65] offset:320
	;; [unrolled: 1-line block ×10, first 2 shown]
.LBB0_9:
	s_or_b32 exec_lo, exec_lo, s33
	s_waitcnt lgkmcnt(0)
	s_barrier
	buffer_gl0_inv
	ds_read_b128 v[40:43], v224
	ds_read_b128 v[44:47], v224 offset:880
	ds_read_b128 v[48:51], v224 offset:176
	;; [unrolled: 1-line block ×3, first 2 shown]
	v_mad_u64_u32 v[80:81], null, s10, v156, 0
	v_mad_u64_u32 v[82:83], null, s8, v223, 0
	ds_read_b128 v[56:59], v224 offset:1056
	ds_read_b128 v[60:63], v224 offset:1232
	;; [unrolled: 1-line block ×6, first 2 shown]
	s_mov_b32 s0, 0x29e4129e
	s_mov_b32 s1, 0x3f829e41
	s_mul_i32 s5, s9, 0x370
	s_mul_hi_u32 s6, s8, 0x370
	s_mul_i32 s4, s8, 0x370
	v_mad_u64_u32 v[88:89], null, s11, v156, v[81:82]
	s_add_i32 s6, s6, s5
	s_mul_hi_u32 s10, s8, 0xfffffd40
	s_mul_i32 s7, s9, 0xfffffd40
	s_mul_i32 s12, s8, 0xfffffd40
	s_sub_i32 s8, s10, s8
	s_waitcnt lgkmcnt(9)
	v_mul_f64 v[84:85], v[6:7], v[42:43]
	v_mul_f64 v[6:7], v[6:7], v[40:41]
	s_waitcnt lgkmcnt(8)
	v_mul_f64 v[86:87], v[2:3], v[46:47]
	v_mul_f64 v[2:3], v[2:3], v[44:45]
	;; [unrolled: 3-line block ×3, first 2 shown]
	v_mov_b32_e32 v81, v88
	s_waitcnt lgkmcnt(1)
	v_mul_f64 v[91:92], v[30:31], v[74:75]
	v_mul_f64 v[30:31], v[30:31], v[72:73]
	v_mul_f64 v[93:94], v[34:35], v[54:55]
	v_mul_f64 v[34:35], v[34:35], v[52:53]
	v_lshlrev_b64 v[80:81], 4, v[80:81]
	s_add_i32 s8, s8, s7
	v_fma_f64 v[40:41], v[4:5], v[40:41], v[84:85]
	v_fma_f64 v[4:5], v[4:5], v[42:43], -v[6:7]
	v_fma_f64 v[6:7], v[0:1], v[44:45], v[86:87]
	v_fma_f64 v[42:43], v[0:1], v[46:47], -v[2:3]
	v_mul_f64 v[44:45], v[14:15], v[58:59]
	v_mul_f64 v[14:15], v[14:15], v[56:57]
	v_mad_u64_u32 v[0:1], null, s9, v223, v[83:84]
	v_mul_f64 v[46:47], v[22:23], v[66:67]
	v_mul_f64 v[22:23], v[22:23], v[64:65]
	;; [unrolled: 1-line block ×6, first 2 shown]
	v_mov_b32_e32 v83, v0
	v_fma_f64 v[48:49], v[8:9], v[48:49], v[89:90]
	v_fma_f64 v[10:11], v[8:9], v[50:51], -v[10:11]
	v_add_co_u32 v50, vcc_lo, s2, v80
	v_lshlrev_b64 v[8:9], 4, v[82:83]
	v_add_co_ci_u32_e32 v51, vcc_lo, s3, v81, vcc_lo
	v_mul_f64 v[0:1], v[40:41], s[0:1]
	v_mul_f64 v[2:3], v[4:5], s[0:1]
	;; [unrolled: 1-line block ×4, first 2 shown]
	s_waitcnt lgkmcnt(0)
	v_mul_f64 v[40:41], v[38:39], v[78:79]
	v_mul_f64 v[38:39], v[38:39], v[76:77]
	v_fma_f64 v[42:43], v[12:13], v[56:57], v[44:45]
	v_fma_f64 v[12:13], v[12:13], v[58:59], -v[14:15]
	v_add_co_u32 v14, vcc_lo, v50, v8
	v_add_co_ci_u32_e32 v15, vcc_lo, v51, v9, vcc_lo
	v_fma_f64 v[46:47], v[20:21], v[64:65], v[46:47]
	v_add_co_u32 v44, vcc_lo, v14, s4
	v_add_co_ci_u32_e32 v45, vcc_lo, s6, v15, vcc_lo
	v_mul_f64 v[8:9], v[48:49], s[0:1]
	v_mul_f64 v[10:11], v[10:11], s[0:1]
	global_store_dwordx4 v[14:15], v[0:3], off
	global_store_dwordx4 v[44:45], v[4:7], off
	v_fma_f64 v[6:7], v[20:21], v[66:67], -v[22:23]
	v_fma_f64 v[14:15], v[16:17], v[60:61], v[84:85]
	v_fma_f64 v[16:17], v[16:17], v[62:63], -v[18:19]
	v_fma_f64 v[18:19], v[24:25], v[68:69], v[86:87]
	;; [unrolled: 2-line block ×5, first 2 shown]
	v_fma_f64 v[32:33], v[36:37], v[78:79], -v[38:39]
	v_add_co_u32 v44, vcc_lo, v44, s12
	v_add_co_ci_u32_e32 v45, vcc_lo, s8, v45, vcc_lo
	v_mul_f64 v[0:1], v[42:43], s[0:1]
	v_add_co_u32 v34, vcc_lo, v44, s4
	v_add_co_ci_u32_e32 v35, vcc_lo, s6, v45, vcc_lo
	v_mul_f64 v[2:3], v[12:13], s[0:1]
	;; [unrolled: 3-line block ×3, first 2 shown]
	v_add_co_u32 v38, vcc_lo, v36, s4
	v_mul_f64 v[6:7], v[6:7], s[0:1]
	v_mul_f64 v[12:13], v[14:15], s[0:1]
	;; [unrolled: 1-line block ×3, first 2 shown]
	v_add_co_ci_u32_e32 v39, vcc_lo, s6, v37, vcc_lo
	v_mul_f64 v[16:17], v[18:19], s[0:1]
	v_mul_f64 v[18:19], v[20:21], s[0:1]
	;; [unrolled: 1-line block ×8, first 2 shown]
	v_add_co_u32 v32, vcc_lo, v38, s12
	v_add_co_ci_u32_e32 v33, vcc_lo, s8, v39, vcc_lo
	global_store_dwordx4 v[44:45], v[8:11], off
	v_add_co_u32 v8, vcc_lo, v32, s4
	v_add_co_ci_u32_e32 v9, vcc_lo, s6, v33, vcc_lo
	global_store_dwordx4 v[34:35], v[0:3], off
	;; [unrolled: 3-line block ×4, first 2 shown]
	global_store_dwordx4 v[32:33], v[16:19], off
	global_store_dwordx4 v[8:9], v[20:23], off
	;; [unrolled: 1-line block ×4, first 2 shown]
.LBB0_10:
	s_endpgm
	.section	.rodata,"a",@progbits
	.p2align	6, 0x0
	.amdhsa_kernel bluestein_single_fwd_len110_dim1_dp_op_CI_CI
		.amdhsa_group_segment_fixed_size 31680
		.amdhsa_private_segment_fixed_size 88
		.amdhsa_kernarg_size 104
		.amdhsa_user_sgpr_count 6
		.amdhsa_user_sgpr_private_segment_buffer 1
		.amdhsa_user_sgpr_dispatch_ptr 0
		.amdhsa_user_sgpr_queue_ptr 0
		.amdhsa_user_sgpr_kernarg_segment_ptr 1
		.amdhsa_user_sgpr_dispatch_id 0
		.amdhsa_user_sgpr_flat_scratch_init 0
		.amdhsa_user_sgpr_private_segment_size 0
		.amdhsa_wavefront_size32 1
		.amdhsa_uses_dynamic_stack 0
		.amdhsa_system_sgpr_private_segment_wavefront_offset 1
		.amdhsa_system_sgpr_workgroup_id_x 1
		.amdhsa_system_sgpr_workgroup_id_y 0
		.amdhsa_system_sgpr_workgroup_id_z 0
		.amdhsa_system_sgpr_workgroup_info 0
		.amdhsa_system_vgpr_workitem_id 0
		.amdhsa_next_free_vgpr 256
		.amdhsa_next_free_sgpr 44
		.amdhsa_reserve_vcc 1
		.amdhsa_reserve_flat_scratch 0
		.amdhsa_float_round_mode_32 0
		.amdhsa_float_round_mode_16_64 0
		.amdhsa_float_denorm_mode_32 3
		.amdhsa_float_denorm_mode_16_64 3
		.amdhsa_dx10_clamp 1
		.amdhsa_ieee_mode 1
		.amdhsa_fp16_overflow 0
		.amdhsa_workgroup_processor_mode 1
		.amdhsa_memory_ordered 1
		.amdhsa_forward_progress 0
		.amdhsa_shared_vgpr_count 0
		.amdhsa_exception_fp_ieee_invalid_op 0
		.amdhsa_exception_fp_denorm_src 0
		.amdhsa_exception_fp_ieee_div_zero 0
		.amdhsa_exception_fp_ieee_overflow 0
		.amdhsa_exception_fp_ieee_underflow 0
		.amdhsa_exception_fp_ieee_inexact 0
		.amdhsa_exception_int_div_zero 0
	.end_amdhsa_kernel
	.text
.Lfunc_end0:
	.size	bluestein_single_fwd_len110_dim1_dp_op_CI_CI, .Lfunc_end0-bluestein_single_fwd_len110_dim1_dp_op_CI_CI
                                        ; -- End function
	.section	.AMDGPU.csdata,"",@progbits
; Kernel info:
; codeLenInByte = 13440
; NumSgprs: 46
; NumVgprs: 256
; ScratchSize: 88
; MemoryBound: 0
; FloatMode: 240
; IeeeMode: 1
; LDSByteSize: 31680 bytes/workgroup (compile time only)
; SGPRBlocks: 5
; VGPRBlocks: 31
; NumSGPRsForWavesPerEU: 46
; NumVGPRsForWavesPerEU: 256
; Occupancy: 4
; WaveLimiterHint : 1
; COMPUTE_PGM_RSRC2:SCRATCH_EN: 1
; COMPUTE_PGM_RSRC2:USER_SGPR: 6
; COMPUTE_PGM_RSRC2:TRAP_HANDLER: 0
; COMPUTE_PGM_RSRC2:TGID_X_EN: 1
; COMPUTE_PGM_RSRC2:TGID_Y_EN: 0
; COMPUTE_PGM_RSRC2:TGID_Z_EN: 0
; COMPUTE_PGM_RSRC2:TIDIG_COMP_CNT: 0
	.text
	.p2alignl 6, 3214868480
	.fill 48, 4, 3214868480
	.type	__hip_cuid_91491d0300ef8c0e,@object ; @__hip_cuid_91491d0300ef8c0e
	.section	.bss,"aw",@nobits
	.globl	__hip_cuid_91491d0300ef8c0e
__hip_cuid_91491d0300ef8c0e:
	.byte	0                               ; 0x0
	.size	__hip_cuid_91491d0300ef8c0e, 1

	.ident	"AMD clang version 19.0.0git (https://github.com/RadeonOpenCompute/llvm-project roc-6.4.0 25133 c7fe45cf4b819c5991fe208aaa96edf142730f1d)"
	.section	".note.GNU-stack","",@progbits
	.addrsig
	.addrsig_sym __hip_cuid_91491d0300ef8c0e
	.amdgpu_metadata
---
amdhsa.kernels:
  - .args:
      - .actual_access:  read_only
        .address_space:  global
        .offset:         0
        .size:           8
        .value_kind:     global_buffer
      - .actual_access:  read_only
        .address_space:  global
        .offset:         8
        .size:           8
        .value_kind:     global_buffer
      - .actual_access:  read_only
        .address_space:  global
        .offset:         16
        .size:           8
        .value_kind:     global_buffer
      - .actual_access:  read_only
        .address_space:  global
        .offset:         24
        .size:           8
        .value_kind:     global_buffer
      - .actual_access:  read_only
        .address_space:  global
        .offset:         32
        .size:           8
        .value_kind:     global_buffer
      - .offset:         40
        .size:           8
        .value_kind:     by_value
      - .address_space:  global
        .offset:         48
        .size:           8
        .value_kind:     global_buffer
      - .address_space:  global
        .offset:         56
        .size:           8
        .value_kind:     global_buffer
      - .address_space:  global
        .offset:         64
        .size:           8
        .value_kind:     global_buffer
      - .address_space:  global
        .offset:         72
        .size:           8
        .value_kind:     global_buffer
      - .offset:         80
        .size:           4
        .value_kind:     by_value
      - .address_space:  global
        .offset:         88
        .size:           8
        .value_kind:     global_buffer
      - .address_space:  global
        .offset:         96
        .size:           8
        .value_kind:     global_buffer
    .group_segment_fixed_size: 31680
    .kernarg_segment_align: 8
    .kernarg_segment_size: 104
    .language:       OpenCL C
    .language_version:
      - 2
      - 0
    .max_flat_workgroup_size: 198
    .name:           bluestein_single_fwd_len110_dim1_dp_op_CI_CI
    .private_segment_fixed_size: 88
    .sgpr_count:     46
    .sgpr_spill_count: 0
    .symbol:         bluestein_single_fwd_len110_dim1_dp_op_CI_CI.kd
    .uniform_work_group_size: 1
    .uses_dynamic_stack: false
    .vgpr_count:     256
    .vgpr_spill_count: 21
    .wavefront_size: 32
    .workgroup_processor_mode: 1
amdhsa.target:   amdgcn-amd-amdhsa--gfx1030
amdhsa.version:
  - 1
  - 2
...

	.end_amdgpu_metadata
